;; amdgpu-corpus repo=ROCm/rocFFT kind=compiled arch=gfx906 opt=O3
	.text
	.amdgcn_target "amdgcn-amd-amdhsa--gfx906"
	.amdhsa_code_object_version 6
	.protected	bluestein_single_back_len504_dim1_dp_op_CI_CI ; -- Begin function bluestein_single_back_len504_dim1_dp_op_CI_CI
	.globl	bluestein_single_back_len504_dim1_dp_op_CI_CI
	.p2align	8
	.type	bluestein_single_back_len504_dim1_dp_op_CI_CI,@function
bluestein_single_back_len504_dim1_dp_op_CI_CI: ; @bluestein_single_back_len504_dim1_dp_op_CI_CI
; %bb.0:
	s_load_dwordx4 s[12:15], s[4:5], 0x28
	v_mul_u32_u24_e32 v1, 0x411, v0
	v_add_u32_sdwa v146, s6, v1 dst_sel:DWORD dst_unused:UNUSED_PAD src0_sel:DWORD src1_sel:WORD_1
	v_mov_b32_e32 v147, 0
	s_waitcnt lgkmcnt(0)
	v_cmp_gt_u64_e32 vcc, s[12:13], v[146:147]
	s_and_saveexec_b64 s[0:1], vcc
	s_cbranch_execz .LBB0_23
; %bb.1:
	s_load_dwordx4 s[8:11], s[4:5], 0x18
	s_load_dwordx2 s[12:13], s[4:5], 0x0
	v_mov_b32_e32 v2, 63
	v_mul_lo_u16_sdwa v1, v1, v2 dst_sel:DWORD dst_unused:UNUSED_PAD src0_sel:WORD_1 src1_sel:DWORD
	v_sub_u16_e32 v176, v0, v1
	s_waitcnt lgkmcnt(0)
	s_load_dwordx4 s[0:3], s[8:9], 0x0
	v_lshlrev_b32_e32 v175, 4, v176
	s_waitcnt lgkmcnt(0)
	v_mad_u64_u32 v[0:1], s[6:7], s2, v146, 0
	v_mad_u64_u32 v[2:3], s[6:7], s0, v176, 0
	s_mul_i32 s6, s1, 0x48
	s_mul_hi_u32 s7, s0, 0x48
	v_mad_u64_u32 v[4:5], s[2:3], s3, v146, v[1:2]
	s_add_i32 s7, s7, s6
	s_mul_i32 s6, s0, 0x48
	v_mad_u64_u32 v[5:6], s[2:3], s1, v176, v[3:4]
	v_mov_b32_e32 v1, v4
	v_lshlrev_b64 v[0:1], 4, v[0:1]
	v_mov_b32_e32 v6, s15
	v_mov_b32_e32 v3, v5
	v_add_co_u32_e32 v4, vcc, s14, v0
	v_addc_co_u32_e32 v5, vcc, v6, v1, vcc
	v_lshlrev_b64 v[0:1], 4, v[2:3]
	v_mov_b32_e32 v2, s13
	v_add_co_u32_e32 v0, vcc, v4, v0
	v_add_co_u32_e64 v144, s[2:3], s12, v175
	v_addc_co_u32_e32 v1, vcc, v5, v1, vcc
	v_addc_co_u32_e64 v145, vcc, 0, v2, s[2:3]
	s_lshl_b64 s[14:15], s[6:7], 4
	v_mov_b32_e32 v14, s15
	v_add_co_u32_e32 v2, vcc, s14, v0
	v_addc_co_u32_e32 v3, vcc, v1, v14, vcc
	global_load_dwordx4 v[32:35], v[0:1], off
	global_load_dwordx4 v[36:39], v[2:3], off
	global_load_dwordx4 v[24:27], v175, s[12:13]
	global_load_dwordx4 v[16:19], v175, s[12:13] offset:1152
	v_add_co_u32_e32 v0, vcc, s14, v2
	v_addc_co_u32_e32 v1, vcc, v3, v14, vcc
	v_add_co_u32_e32 v2, vcc, s14, v0
	v_addc_co_u32_e32 v3, vcc, v1, v14, vcc
	global_load_dwordx4 v[40:43], v[0:1], off
	global_load_dwordx4 v[44:47], v[2:3], off
	global_load_dwordx4 v[20:23], v175, s[12:13] offset:2304
	global_load_dwordx4 v[4:7], v175, s[12:13] offset:3456
	v_add_co_u32_e32 v0, vcc, s14, v2
	v_addc_co_u32_e32 v1, vcc, v3, v14, vcc
	s_movk_i32 s6, 0x1000
	v_add_co_u32_e32 v28, vcc, s6, v144
	v_addc_co_u32_e32 v29, vcc, 0, v145, vcc
	v_add_co_u32_e32 v12, vcc, s14, v0
	global_load_dwordx4 v[48:51], v[0:1], off
	v_addc_co_u32_e32 v13, vcc, v1, v14, vcc
	global_load_dwordx4 v[52:55], v[12:13], off
	global_load_dwordx4 v[8:11], v[28:29], off offset:512
	global_load_dwordx4 v[0:3], v[28:29], off offset:1664
	v_add_co_u32_e32 v30, vcc, s14, v12
	v_addc_co_u32_e32 v31, vcc, v13, v14, vcc
	global_load_dwordx4 v[12:15], v[28:29], off offset:2816
	global_load_dwordx4 v[56:59], v[30:31], off
	s_load_dwordx2 s[6:7], s[4:5], 0x38
	v_cmp_gt_u16_e32 vcc, 9, v176
	s_load_dwordx4 s[8:11], s[10:11], 0x0
	s_waitcnt vmcnt(11)
	v_mul_f64 v[60:61], v[34:35], v[26:27]
	v_mul_f64 v[62:63], v[32:33], v[26:27]
	s_waitcnt vmcnt(10)
	v_mul_f64 v[64:65], v[38:39], v[18:19]
	v_mul_f64 v[66:67], v[36:37], v[18:19]
	v_fma_f64 v[32:33], v[32:33], v[24:25], v[60:61]
	s_waitcnt vmcnt(7)
	v_mul_f64 v[68:69], v[42:43], v[22:23]
	v_mul_f64 v[70:71], v[40:41], v[22:23]
	s_waitcnt vmcnt(6)
	v_mul_f64 v[72:73], v[46:47], v[6:7]
	v_mul_f64 v[74:75], v[44:45], v[6:7]
	v_fma_f64 v[34:35], v[34:35], v[24:25], -v[62:63]
	v_fma_f64 v[36:37], v[36:37], v[16:17], v[64:65]
	v_fma_f64 v[38:39], v[38:39], v[16:17], -v[66:67]
	v_fma_f64 v[40:41], v[40:41], v[20:21], v[68:69]
	;; [unrolled: 2-line block ×3, first 2 shown]
	v_fma_f64 v[46:47], v[46:47], v[4:5], -v[74:75]
	s_waitcnt vmcnt(3)
	v_mul_f64 v[76:77], v[50:51], v[10:11]
	v_mul_f64 v[78:79], v[48:49], v[10:11]
	s_waitcnt vmcnt(2)
	v_mul_f64 v[80:81], v[54:55], v[2:3]
	v_mul_f64 v[82:83], v[52:53], v[2:3]
	;; [unrolled: 3-line block ×3, first 2 shown]
	v_fma_f64 v[48:49], v[48:49], v[8:9], v[76:77]
	v_fma_f64 v[50:51], v[50:51], v[8:9], -v[78:79]
	v_fma_f64 v[52:53], v[52:53], v[0:1], v[80:81]
	v_fma_f64 v[54:55], v[54:55], v[0:1], -v[82:83]
	;; [unrolled: 2-line block ×3, first 2 shown]
	ds_write_b128 v175, v[32:35]
	ds_write_b128 v175, v[36:39] offset:1152
	ds_write_b128 v175, v[40:43] offset:2304
	;; [unrolled: 1-line block ×6, first 2 shown]
	s_and_saveexec_b64 s[16:17], vcc
	s_cbranch_execz .LBB0_3
; %bb.2:
	v_mov_b32_e32 v32, 0xffffe8f0
	v_mad_u64_u32 v[34:35], s[18:19], s0, v32, v[30:31]
	s_mulk_i32 s1, 0xe8f0
	s_sub_i32 s0, s1, s0
	v_add_u32_e32 v35, s0, v35
	v_mov_b32_e32 v80, s15
	v_add_co_u32_e64 v46, s[0:1], s14, v34
	v_addc_co_u32_e64 v47, s[0:1], v35, v80, s[0:1]
	v_add_co_u32_e64 v50, s[0:1], s14, v46
	v_addc_co_u32_e64 v51, s[0:1], v47, v80, s[0:1]
	v_add_co_u32_e64 v62, s[0:1], s14, v50
	global_load_dwordx4 v[30:33], v[34:35], off
	v_addc_co_u32_e64 v63, s[0:1], v51, v80, s[0:1]
	global_load_dwordx4 v[34:37], v[46:47], off
	global_load_dwordx4 v[38:41], v[144:145], off offset:1008
	global_load_dwordx4 v[42:45], v[144:145], off offset:2160
	v_add_co_u32_e64 v66, s[0:1], s14, v62
	global_load_dwordx4 v[46:49], v[50:51], off
	v_addc_co_u32_e64 v67, s[0:1], v63, v80, s[0:1]
	global_load_dwordx4 v[50:53], v[62:63], off
	global_load_dwordx4 v[54:57], v[144:145], off offset:3312
	global_load_dwordx4 v[58:61], v[28:29], off offset:368
	;; [unrolled: 6-line block ×3, first 2 shown]
	v_add_co_u32_e64 v86, s[0:1], s14, v78
	v_addc_co_u32_e64 v87, s[0:1], v79, v80, s[0:1]
	global_load_dwordx4 v[78:81], v[28:29], off offset:3824
	global_load_dwordx4 v[82:85], v[86:87], off
	s_waitcnt vmcnt(11)
	v_mul_f64 v[28:29], v[32:33], v[40:41]
	v_mul_f64 v[40:41], v[30:31], v[40:41]
	s_waitcnt vmcnt(10)
	v_mul_f64 v[86:87], v[36:37], v[44:45]
	v_mul_f64 v[44:45], v[34:35], v[44:45]
	;; [unrolled: 3-line block ×4, first 2 shown]
	v_fma_f64 v[28:29], v[30:31], v[38:39], v[28:29]
	v_fma_f64 v[30:31], v[32:33], v[38:39], -v[40:41]
	s_waitcnt vmcnt(3)
	v_mul_f64 v[92:93], v[64:65], v[72:73]
	v_mul_f64 v[72:73], v[62:63], v[72:73]
	s_waitcnt vmcnt(2)
	v_mul_f64 v[94:95], v[68:69], v[76:77]
	v_mul_f64 v[76:77], v[66:67], v[76:77]
	v_fma_f64 v[32:33], v[34:35], v[42:43], v[86:87]
	v_fma_f64 v[34:35], v[36:37], v[42:43], -v[44:45]
	s_waitcnt vmcnt(0)
	v_mul_f64 v[96:97], v[84:85], v[80:81]
	v_mul_f64 v[80:81], v[82:83], v[80:81]
	v_fma_f64 v[36:37], v[46:47], v[54:55], v[88:89]
	v_fma_f64 v[38:39], v[48:49], v[54:55], -v[56:57]
	v_fma_f64 v[40:41], v[50:51], v[58:59], v[90:91]
	v_fma_f64 v[42:43], v[52:53], v[58:59], -v[60:61]
	;; [unrolled: 2-line block ×5, first 2 shown]
	ds_write_b128 v175, v[28:31] offset:1008
	ds_write_b128 v175, v[32:35] offset:2160
	;; [unrolled: 1-line block ×7, first 2 shown]
.LBB0_3:
	s_or_b64 exec, exec, s[16:17]
	s_waitcnt lgkmcnt(0)
	; wave barrier
	s_waitcnt lgkmcnt(0)
	ds_read_b128 v[56:59], v175
	ds_read_b128 v[72:75], v175 offset:1152
	ds_read_b128 v[68:71], v175 offset:2304
	;; [unrolled: 1-line block ×6, first 2 shown]
                                        ; implicit-def: $vgpr28_vgpr29
                                        ; implicit-def: $vgpr32_vgpr33
                                        ; implicit-def: $vgpr36_vgpr37
                                        ; implicit-def: $vgpr40_vgpr41
                                        ; implicit-def: $vgpr44_vgpr45
                                        ; implicit-def: $vgpr48_vgpr49
                                        ; implicit-def: $vgpr52_vgpr53
	s_and_saveexec_b64 s[0:1], vcc
	s_cbranch_execz .LBB0_5
; %bb.4:
	ds_read_b128 v[28:31], v175 offset:1008
	ds_read_b128 v[32:35], v175 offset:2160
	ds_read_b128 v[36:39], v175 offset:3312
	ds_read_b128 v[40:43], v175 offset:4464
	ds_read_b128 v[44:47], v175 offset:5616
	ds_read_b128 v[48:51], v175 offset:6768
	ds_read_b128 v[52:55], v175 offset:7920
.LBB0_5:
	s_or_b64 exec, exec, s[0:1]
	s_waitcnt lgkmcnt(0)
	v_add_f64 v[84:85], v[72:73], v[80:81]
	v_add_f64 v[86:87], v[74:75], v[82:83]
	v_add_f64 v[72:73], v[72:73], -v[80:81]
	v_add_f64 v[74:75], v[74:75], -v[82:83]
	v_add_f64 v[80:81], v[68:69], v[76:77]
	v_add_f64 v[82:83], v[70:71], v[78:79]
	v_add_f64 v[68:69], v[68:69], -v[76:77]
	v_add_f64 v[70:71], v[70:71], -v[78:79]
	;; [unrolled: 4-line block ×4, first 2 shown]
	v_add_f64 v[84:85], v[84:85], -v[76:77]
	v_add_f64 v[86:87], v[86:87], -v[78:79]
	;; [unrolled: 1-line block ×4, first 2 shown]
	v_add_f64 v[92:93], v[60:61], v[68:69]
	v_add_f64 v[94:95], v[62:63], v[70:71]
	v_add_f64 v[96:97], v[60:61], -v[68:69]
	v_add_f64 v[98:99], v[62:63], -v[70:71]
	v_add_f64 v[64:65], v[76:77], v[64:65]
	v_add_f64 v[66:67], v[78:79], v[66:67]
	v_add_f64 v[68:69], v[68:69], -v[72:73]
	v_add_f64 v[70:71], v[70:71], -v[74:75]
	s_mov_b32 s16, 0x37e14327
	s_mov_b32 s14, 0x36b3c0b5
	;; [unrolled: 1-line block ×8, first 2 shown]
	v_add_f64 v[76:77], v[72:73], -v[60:61]
	v_add_f64 v[78:79], v[74:75], -v[62:63]
	v_add_f64 v[72:73], v[92:93], v[72:73]
	v_add_f64 v[74:75], v[94:95], v[74:75]
	;; [unrolled: 1-line block ×4, first 2 shown]
	v_mul_f64 v[56:57], v[84:85], s[16:17]
	v_mul_f64 v[58:59], v[86:87], s[16:17]
	;; [unrolled: 1-line block ×8, first 2 shown]
	s_mov_b32 s22, 0xaaaaaaaa
	s_mov_b32 s24, 0x5476071b
	;; [unrolled: 1-line block ×10, first 2 shown]
	v_fma_f64 v[64:65], v[64:65], s[22:23], v[60:61]
	v_fma_f64 v[66:67], v[66:67], s[22:23], v[62:63]
	;; [unrolled: 1-line block ×4, first 2 shown]
	v_fma_f64 v[84:85], v[88:89], s[24:25], -v[84:85]
	v_fma_f64 v[86:87], v[90:91], s[24:25], -v[86:87]
	;; [unrolled: 1-line block ×4, first 2 shown]
	v_fma_f64 v[88:89], v[76:77], s[28:29], v[92:93]
	v_fma_f64 v[90:91], v[78:79], s[28:29], v[94:95]
	v_fma_f64 v[76:77], v[76:77], s[34:35], -v[96:97]
	v_fma_f64 v[78:79], v[78:79], s[34:35], -v[98:99]
	s_mov_b32 s30, 0x37c3f68c
	s_mov_b32 s31, 0x3fdc38aa
	v_fma_f64 v[68:69], v[68:69], s[18:19], -v[92:93]
	v_fma_f64 v[70:71], v[70:71], s[18:19], -v[94:95]
	v_add_f64 v[56:57], v[56:57], v[64:65]
	v_add_f64 v[58:59], v[58:59], v[66:67]
	v_fma_f64 v[76:77], v[72:73], s[30:31], v[76:77]
	v_fma_f64 v[78:79], v[74:75], s[30:31], v[78:79]
	;; [unrolled: 1-line block ×6, first 2 shown]
	v_add_f64 v[84:85], v[84:85], v[64:65]
	v_add_f64 v[86:87], v[86:87], v[66:67]
	v_add_f64 v[70:71], v[58:59], -v[76:77]
	v_add_f64 v[68:69], v[56:57], v[78:79]
	v_add_f64 v[100:101], v[56:57], -v[78:79]
	v_add_f64 v[102:103], v[76:77], v[58:59]
	v_add_f64 v[56:57], v[32:33], v[52:53]
	v_add_f64 v[58:59], v[34:35], v[54:55]
	v_add_f64 v[32:33], v[32:33], -v[52:53]
	v_add_f64 v[34:35], v[34:35], -v[54:55]
	v_add_f64 v[52:53], v[36:37], v[48:49]
	v_add_f64 v[54:55], v[38:39], v[50:51]
	v_add_f64 v[36:37], v[36:37], -v[48:49]
	v_add_f64 v[38:39], v[38:39], -v[50:51]
	v_add_f64 v[48:49], v[40:41], v[44:45]
	v_add_f64 v[50:51], v[42:43], v[46:47]
	;; [unrolled: 4-line block ×3, first 2 shown]
	v_add_f64 v[92:93], v[84:85], -v[74:75]
	v_add_f64 v[94:95], v[72:73], v[86:87]
	v_add_f64 v[96:97], v[84:85], v[74:75]
	v_add_f64 v[98:99], v[86:87], -v[72:73]
	v_add_f64 v[72:73], v[52:53], -v[56:57]
	;; [unrolled: 1-line block ×7, first 2 shown]
	v_add_f64 v[76:77], v[40:41], v[36:37]
	v_add_f64 v[78:79], v[42:43], v[38:39]
	v_add_f64 v[84:85], v[40:41], -v[36:37]
	v_add_f64 v[86:87], v[42:43], -v[38:39]
	v_add_f64 v[44:45], v[48:49], v[44:45]
	v_add_f64 v[46:47], v[50:51], v[46:47]
	v_add_f64 v[36:37], v[36:37], -v[32:33]
	v_add_f64 v[38:39], v[38:39], -v[34:35]
	;; [unrolled: 1-line block ×4, first 2 shown]
	v_add_f64 v[32:33], v[76:77], v[32:33]
	v_add_f64 v[34:35], v[78:79], v[34:35]
	;; [unrolled: 1-line block ×4, first 2 shown]
	v_mul_f64 v[28:29], v[56:57], s[16:17]
	v_mul_f64 v[30:31], v[58:59], s[16:17]
	;; [unrolled: 1-line block ×8, first 2 shown]
	v_fma_f64 v[44:45], v[44:45], s[22:23], v[104:105]
	v_fma_f64 v[46:47], v[46:47], s[22:23], v[106:107]
	;; [unrolled: 1-line block ×4, first 2 shown]
	v_fma_f64 v[48:49], v[72:73], s[24:25], -v[48:49]
	v_fma_f64 v[50:51], v[74:75], s[24:25], -v[50:51]
	;; [unrolled: 1-line block ×4, first 2 shown]
	v_fma_f64 v[72:73], v[40:41], s[28:29], v[56:57]
	v_fma_f64 v[74:75], v[42:43], s[28:29], v[58:59]
	v_fma_f64 v[36:37], v[36:37], s[18:19], -v[56:57]
	v_fma_f64 v[38:39], v[38:39], s[18:19], -v[58:59]
	;; [unrolled: 1-line block ×4, first 2 shown]
	v_add_f64 v[80:81], v[80:81], v[64:65]
	v_add_f64 v[82:83], v[82:83], v[66:67]
	;; [unrolled: 1-line block ×8, first 2 shown]
	v_fma_f64 v[44:45], v[34:35], s[30:31], v[74:75]
	v_fma_f64 v[46:47], v[32:33], s[30:31], v[72:73]
	;; [unrolled: 1-line block ×6, first 2 shown]
	v_add_f64 v[64:65], v[80:81], v[90:91]
	v_add_f64 v[66:67], v[82:83], -v[88:89]
	v_add_f64 v[108:109], v[80:81], -v[90:91]
	v_add_f64 v[110:111], v[88:89], v[82:83]
	v_add_f64 v[112:113], v[52:53], v[44:45]
	v_add_f64 v[114:115], v[54:55], -v[46:47]
	v_add_f64 v[72:73], v[28:29], v[42:43]
	v_add_f64 v[74:75], v[30:31], -v[40:41]
	v_add_f64 v[76:77], v[48:49], -v[34:35]
	v_add_f64 v[78:79], v[32:33], v[50:51]
	v_add_f64 v[80:81], v[48:49], v[34:35]
	v_add_f64 v[82:83], v[50:51], -v[32:33]
	v_add_f64 v[84:85], v[28:29], -v[42:43]
	v_add_f64 v[86:87], v[40:41], v[30:31]
	v_add_f64 v[88:89], v[52:53], -v[44:45]
	v_add_f64 v[90:91], v[46:47], v[54:55]
	s_load_dwordx2 s[4:5], s[4:5], 0x8
	v_add_co_u32_e64 v116, s[0:1], 63, v176
	v_mul_lo_u16_e32 v28, 7, v176
	v_lshlrev_b32_e32 v180, 4, v28
	v_mul_u32_u24_e32 v179, 7, v116
	s_waitcnt lgkmcnt(0)
	; wave barrier
	s_waitcnt lgkmcnt(0)
	ds_write_b128 v180, v[60:63]
	ds_write_b128 v180, v[64:67] offset:16
	ds_write_b128 v180, v[68:71] offset:32
	;; [unrolled: 1-line block ×6, first 2 shown]
	s_and_saveexec_b64 s[0:1], vcc
	s_cbranch_execz .LBB0_7
; %bb.6:
	v_lshlrev_b32_e32 v28, 4, v179
	ds_write_b128 v28, v[104:107]
	ds_write_b128 v28, v[112:115] offset:16
	ds_write_b128 v28, v[72:75] offset:32
	;; [unrolled: 1-line block ×6, first 2 shown]
.LBB0_7:
	s_or_b64 exec, exec, s[0:1]
	v_cmp_gt_u16_e64 s[0:1], 56, v176
	s_waitcnt lgkmcnt(0)
	; wave barrier
	s_waitcnt lgkmcnt(0)
	s_and_saveexec_b64 s[14:15], s[0:1]
	s_cbranch_execz .LBB0_9
; %bb.8:
	ds_read_b128 v[60:63], v175
	ds_read_b128 v[64:67], v175 offset:896
	ds_read_b128 v[68:71], v175 offset:1792
	;; [unrolled: 1-line block ×8, first 2 shown]
.LBB0_9:
	s_or_b64 exec, exec, s[14:15]
	v_mov_b32_e32 v28, 37
	v_mul_lo_u16_sdwa v28, v176, v28 dst_sel:DWORD dst_unused:UNUSED_PAD src0_sel:BYTE_0 src1_sel:DWORD
	v_sub_u16_sdwa v29, v176, v28 dst_sel:DWORD dst_unused:UNUSED_PAD src0_sel:DWORD src1_sel:BYTE_1
	v_lshrrev_b16_e32 v29, 1, v29
	v_and_b32_e32 v29, 0x7f, v29
	v_add_u16_sdwa v28, v29, v28 dst_sel:DWORD dst_unused:UNUSED_PAD src0_sel:DWORD src1_sel:BYTE_1
	v_lshrrev_b16_e32 v151, 2, v28
	v_mul_lo_u16_e32 v28, 7, v151
	v_sub_u16_e32 v28, v176, v28
	v_and_b32_e32 v177, 0xff, v28
	v_lshlrev_b32_e32 v116, 7, v177
	global_load_dwordx4 v[28:31], v116, s[4:5]
	global_load_dwordx4 v[40:43], v116, s[4:5] offset:16
	global_load_dwordx4 v[32:35], v116, s[4:5] offset:32
	;; [unrolled: 1-line block ×7, first 2 shown]
	s_mov_b32 s24, 0xa2cf5039
	s_mov_b32 s19, 0x3fe491b7
	;; [unrolled: 1-line block ×14, first 2 shown]
	v_mul_u32_u24_e32 v178, 63, v151
	s_waitcnt lgkmcnt(0)
	; wave barrier
	s_waitcnt vmcnt(7) lgkmcnt(0)
	v_mul_f64 v[116:117], v[66:67], v[30:31]
	v_mul_f64 v[118:119], v[64:65], v[30:31]
	s_waitcnt vmcnt(6)
	v_mul_f64 v[120:121], v[70:71], v[42:43]
	v_mul_f64 v[122:123], v[68:69], v[42:43]
	s_waitcnt vmcnt(5)
	;; [unrolled: 3-line block ×3, first 2 shown]
	v_mul_f64 v[128:129], v[98:99], v[38:39]
	s_waitcnt vmcnt(0)
	v_mul_f64 v[147:148], v[114:115], v[46:47]
	v_mul_f64 v[149:150], v[112:113], v[46:47]
	;; [unrolled: 1-line block ×5, first 2 shown]
	v_fma_f64 v[64:65], v[64:65], v[28:29], -v[116:117]
	v_fma_f64 v[66:67], v[66:67], v[28:29], v[118:119]
	v_fma_f64 v[116:117], v[68:69], v[40:41], -v[120:121]
	v_fma_f64 v[118:119], v[70:71], v[40:41], v[122:123]
	;; [unrolled: 2-line block ×3, first 2 shown]
	v_mul_f64 v[136:137], v[110:111], v[50:51]
	v_mul_f64 v[138:139], v[108:109], v[50:51]
	v_fma_f64 v[120:121], v[92:93], v[32:33], -v[124:125]
	v_fma_f64 v[122:123], v[94:95], v[32:33], v[126:127]
	v_fma_f64 v[124:125], v[96:97], v[36:37], -v[128:129]
	v_fma_f64 v[126:127], v[98:99], v[36:37], v[130:131]
	;; [unrolled: 2-line block ×3, first 2 shown]
	v_add_f64 v[96:97], v[64:65], -v[68:69]
	v_add_f64 v[98:99], v[66:67], -v[70:71]
	v_add_f64 v[104:105], v[64:65], v[68:69]
	v_add_f64 v[106:107], v[66:67], v[70:71]
	v_mul_f64 v[132:133], v[102:103], v[54:55]
	v_mul_f64 v[134:135], v[100:101], v[54:55]
	v_fma_f64 v[108:109], v[108:109], v[48:49], -v[136:137]
	v_fma_f64 v[110:111], v[110:111], v[48:49], v[138:139]
	v_add_f64 v[68:69], v[116:117], v[92:93]
	v_add_f64 v[70:71], v[118:119], v[94:95]
	v_add_f64 v[92:93], v[116:117], -v[92:93]
	v_add_f64 v[94:95], v[118:119], -v[94:95]
	v_mul_f64 v[64:65], v[96:97], s[18:19]
	v_mul_f64 v[66:67], v[98:99], s[18:19]
	v_fma_f64 v[116:117], v[104:105], s[24:25], v[60:61]
	v_fma_f64 v[118:119], v[106:107], s[24:25], v[62:63]
	v_fma_f64 v[100:101], v[100:101], v[52:53], -v[132:133]
	v_fma_f64 v[102:103], v[102:103], v[52:53], v[134:135]
	v_add_f64 v[112:113], v[120:121], v[108:109]
	v_add_f64 v[114:115], v[122:123], v[110:111]
	v_add_f64 v[130:131], v[120:121], -v[108:109]
	v_add_f64 v[128:129], v[122:123], -v[110:111]
	v_fma_f64 v[64:65], v[92:93], s[16:17], v[64:65]
	v_fma_f64 v[66:67], v[94:95], s[16:17], v[66:67]
	;; [unrolled: 1-line block ×4, first 2 shown]
	v_add_f64 v[116:117], v[124:125], -v[100:101]
	v_add_f64 v[118:119], v[126:127], -v[102:103]
	v_add_f64 v[120:121], v[124:125], v[100:101]
	v_add_f64 v[122:123], v[126:127], v[102:103]
	v_fma_f64 v[64:65], v[130:131], s[14:15], v[64:65]
	v_fma_f64 v[66:67], v[128:129], s[14:15], v[66:67]
	v_fma_f64 v[108:109], v[112:113], -0.5, v[108:109]
	v_fma_f64 v[110:111], v[114:115], -0.5, v[110:111]
	v_fma_f64 v[132:133], v[116:117], s[26:27], v[64:65]
	v_fma_f64 v[134:135], v[118:119], s[26:27], v[66:67]
	;; [unrolled: 1-line block ×4, first 2 shown]
	v_add_f64 v[64:65], v[134:135], v[64:65]
	v_add_f64 v[66:67], v[66:67], -v[132:133]
	v_fma_f64 v[108:109], v[134:135], -2.0, v[64:65]
	v_fma_f64 v[110:111], v[132:133], 2.0, v[66:67]
	s_and_saveexec_b64 s[20:21], s[0:1]
	s_cbranch_execz .LBB0_11
; %bb.10:
	v_mul_f64 v[132:133], v[116:117], s[16:17]
	v_fma_f64 v[134:135], v[70:71], s[24:25], v[62:63]
	v_mul_f64 v[136:137], v[118:119], s[16:17]
	v_fma_f64 v[138:139], v[68:69], s[24:25], v[60:61]
	s_mov_b32 s19, 0xbfe491b7
	v_mul_f64 v[130:131], v[130:131], s[14:15]
	v_mul_f64 v[128:129], v[128:129], s[14:15]
	v_mul_f64 v[140:141], v[112:113], 0.5
	v_mul_f64 v[142:143], v[114:115], 0.5
	v_fma_f64 v[132:133], v[92:93], s[18:19], -v[132:133]
	v_fma_f64 v[134:135], v[122:123], s[22:23], v[134:135]
	v_fma_f64 v[136:137], v[94:95], s[18:19], -v[136:137]
	v_fma_f64 v[138:139], v[120:121], s[22:23], v[138:139]
	v_add_f64 v[147:148], v[70:71], v[106:107]
	v_add_f64 v[149:150], v[68:69], v[104:105]
	v_fma_f64 v[155:156], v[122:123], s[24:25], v[62:63]
	v_fma_f64 v[157:158], v[120:121], s[24:25], v[60:61]
	v_add_f64 v[132:133], v[130:131], v[132:133]
	v_add_f64 v[134:135], v[134:135], -v[142:143]
	v_add_f64 v[136:137], v[128:129], v[136:137]
	v_add_f64 v[138:139], v[138:139], -v[140:141]
	v_add_f64 v[151:152], v[114:115], v[147:148]
	v_add_f64 v[153:154], v[112:113], v[149:150]
	v_mul_f64 v[159:160], v[116:117], s[18:19]
	v_mul_f64 v[161:162], v[118:119], s[18:19]
	v_fma_f64 v[132:133], v[96:97], s[26:27], v[132:133]
	v_fma_f64 v[134:135], v[106:107], s[28:29], v[134:135]
	;; [unrolled: 1-line block ×4, first 2 shown]
	v_add_f64 v[151:152], v[126:127], v[151:152]
	v_add_f64 v[153:154], v[124:125], v[153:154]
	v_fma_f64 v[106:107], v[106:107], s[22:23], v[155:156]
	v_fma_f64 v[104:105], v[104:105], s[22:23], v[157:158]
	v_add_f64 v[114:115], v[62:63], v[114:115]
	v_add_f64 v[126:127], v[134:135], -v[132:133]
	v_fma_f64 v[134:135], v[96:97], s[16:17], v[159:160]
	v_add_f64 v[124:125], v[136:137], v[138:139]
	v_fma_f64 v[138:139], v[98:99], s[16:17], v[161:162]
	v_add_f64 v[122:123], v[122:123], v[147:148]
	v_add_f64 v[96:97], v[116:117], v[96:97]
	;; [unrolled: 1-line block ×5, first 2 shown]
	v_add_f64 v[106:107], v[106:107], -v[142:143]
	v_add_f64 v[118:119], v[134:135], -v[130:131]
	;; [unrolled: 1-line block ×5, first 2 shown]
	v_fma_f64 v[114:115], v[122:123], -0.5, v[114:115]
	v_add_f64 v[98:99], v[98:99], -v[94:95]
	v_fma_f64 v[112:113], v[116:117], -0.5, v[112:113]
	v_fma_f64 v[106:107], v[70:71], s[28:29], v[106:107]
	v_fma_f64 v[116:117], v[92:93], s[26:27], v[118:119]
	v_fma_f64 v[118:119], v[94:95], s[26:27], v[120:121]
	v_fma_f64 v[92:93], v[68:69], s[28:29], v[104:105]
	v_add_f64 v[102:103], v[102:103], v[151:152]
	v_add_f64 v[100:101], v[100:101], v[153:154]
	s_mov_b32 s17, 0xbfebb67a
	s_mov_b32 s16, s14
	v_mul_f64 v[104:105], v[96:97], s[14:15]
	v_fma_f64 v[70:71], v[96:97], s[16:17], v[114:115]
	v_mul_f64 v[114:115], v[98:99], s[14:15]
	v_fma_f64 v[68:69], v[98:99], s[14:15], v[112:113]
	v_add_f64 v[94:95], v[106:107], -v[116:117]
	v_add_f64 v[92:93], v[118:119], v[92:93]
	v_add_f64 v[62:63], v[62:63], v[102:103]
	;; [unrolled: 1-line block ×3, first 2 shown]
	v_fma_f64 v[98:99], v[132:133], 2.0, v[126:127]
	v_fma_f64 v[96:97], v[136:137], -2.0, v[124:125]
	v_fma_f64 v[102:103], v[104:105], 2.0, v[70:71]
	v_fma_f64 v[100:101], v[114:115], -2.0, v[68:69]
	;; [unrolled: 2-line block ×3, first 2 shown]
	v_add_lshl_u32 v112, v178, v177, 4
	ds_write_b128 v112, v[60:63]
	ds_write_b128 v112, v[64:67] offset:112
	ds_write_b128 v112, v[92:95] offset:224
	;; [unrolled: 1-line block ×8, first 2 shown]
.LBB0_11:
	s_or_b64 exec, exec, s[20:21]
	v_mad_u64_u32 v[128:129], s[4:5], v176, 48, s[4:5]
	s_waitcnt lgkmcnt(0)
	; wave barrier
	s_waitcnt lgkmcnt(0)
	global_load_dwordx4 v[68:71], v[128:129], off offset:896
	global_load_dwordx4 v[64:67], v[128:129], off offset:912
	;; [unrolled: 1-line block ×3, first 2 shown]
	ds_read_b128 v[92:95], v175
	ds_read_b128 v[96:99], v175 offset:1008
	ds_read_b128 v[100:103], v175 offset:2016
	;; [unrolled: 1-line block ×7, first 2 shown]
	v_lshlrev_b32_e32 v130, 5, v176
	v_sub_co_u32_e64 v128, s[4:5], v128, v130
	v_subbrev_co_u32_e64 v129, s[4:5], 0, v129, s[4:5]
	s_movk_i32 s12, 0x1000
	s_waitcnt lgkmcnt(0)
	; wave barrier
	s_waitcnt vmcnt(2) lgkmcnt(0)
	v_mul_f64 v[130:131], v[102:103], v[70:71]
	v_mul_f64 v[132:133], v[100:101], v[70:71]
	s_waitcnt vmcnt(1)
	v_mul_f64 v[134:135], v[114:115], v[66:67]
	v_mul_f64 v[136:137], v[112:113], v[66:67]
	s_waitcnt vmcnt(0)
	v_mul_f64 v[138:139], v[122:123], v[62:63]
	v_mul_f64 v[140:141], v[120:121], v[62:63]
	;; [unrolled: 1-line block ×8, first 2 shown]
	v_fma_f64 v[100:101], v[100:101], v[68:69], -v[130:131]
	v_fma_f64 v[102:103], v[102:103], v[68:69], v[132:133]
	v_fma_f64 v[112:113], v[112:113], v[64:65], -v[134:135]
	v_fma_f64 v[114:115], v[114:115], v[64:65], v[136:137]
	;; [unrolled: 2-line block ×6, first 2 shown]
	v_add_f64 v[112:113], v[92:93], -v[112:113]
	v_add_f64 v[114:115], v[94:95], -v[114:115]
	;; [unrolled: 1-line block ×8, first 2 shown]
	v_fma_f64 v[130:131], v[92:93], 2.0, -v[112:113]
	v_fma_f64 v[132:133], v[94:95], 2.0, -v[114:115]
	;; [unrolled: 1-line block ×8, first 2 shown]
	v_add_f64 v[92:93], v[112:113], -v[122:123]
	v_add_f64 v[94:95], v[114:115], v[120:121]
	v_add_f64 v[96:97], v[116:117], -v[126:127]
	v_add_f64 v[98:99], v[118:119], v[124:125]
	v_add_f64 v[100:101], v[130:131], -v[100:101]
	v_add_f64 v[102:103], v[132:133], -v[102:103]
	;; [unrolled: 1-line block ×4, first 2 shown]
	v_fma_f64 v[112:113], v[112:113], 2.0, -v[92:93]
	v_fma_f64 v[114:115], v[114:115], 2.0, -v[94:95]
	;; [unrolled: 1-line block ×8, first 2 shown]
	ds_write_b128 v175, v[92:95] offset:3024
	ds_write_b128 v175, v[96:99] offset:7056
	;; [unrolled: 1-line block ×6, first 2 shown]
	ds_write_b128 v175, v[120:123]
	ds_write_b128 v175, v[124:127] offset:4032
	s_waitcnt lgkmcnt(0)
	; wave barrier
	s_waitcnt lgkmcnt(0)
	global_load_dwordx4 v[92:95], v[128:129], off offset:3920
	v_add_co_u32_e64 v112, s[4:5], s12, v128
	v_addc_co_u32_e64 v113, s[4:5], 0, v129, s[4:5]
	global_load_dwordx4 v[96:99], v[112:113], off offset:832
	global_load_dwordx4 v[100:103], v[112:113], off offset:1840
	;; [unrolled: 1-line block ×3, first 2 shown]
	ds_read_b128 v[120:123], v175
	ds_read_b128 v[124:127], v175 offset:1008
	ds_read_b128 v[114:117], v175 offset:4032
	;; [unrolled: 1-line block ×7, first 2 shown]
	v_mov_b32_e32 v112, s13
	s_movk_i32 s4, 0x1f80
	v_addc_co_u32_e64 v167, s[2:3], 0, v112, s[2:3]
	v_add_co_u32_e64 v112, s[2:3], s4, v144
	v_addc_co_u32_e64 v113, s[2:3], 0, v167, s[2:3]
	v_add_co_u32_e64 v151, s[2:3], s12, v144
	v_addc_co_u32_e64 v152, s[2:3], 0, v167, s[2:3]
	s_movk_i32 s5, 0x3000
	s_waitcnt vmcnt(3) lgkmcnt(5)
	v_mul_f64 v[118:119], v[116:117], v[94:95]
	v_mul_f64 v[153:154], v[114:115], v[94:95]
	s_waitcnt vmcnt(2) lgkmcnt(4)
	v_mul_f64 v[155:156], v[130:131], v[98:99]
	v_mul_f64 v[157:158], v[128:129], v[98:99]
	;; [unrolled: 3-line block ×4, first 2 shown]
	v_fma_f64 v[114:115], v[114:115], v[92:93], -v[118:119]
	v_fma_f64 v[116:117], v[116:117], v[92:93], v[153:154]
	v_fma_f64 v[118:119], v[128:129], v[96:97], -v[155:156]
	v_fma_f64 v[153:154], v[130:131], v[96:97], v[157:158]
	;; [unrolled: 2-line block ×4, first 2 shown]
	v_add_f64 v[128:129], v[120:121], -v[114:115]
	v_add_f64 v[130:131], v[122:123], -v[116:117]
	;; [unrolled: 1-line block ×8, first 2 shown]
	v_fma_f64 v[120:121], v[120:121], 2.0, -v[128:129]
	v_fma_f64 v[122:123], v[122:123], 2.0, -v[130:131]
	;; [unrolled: 1-line block ×8, first 2 shown]
	ds_write_b128 v175, v[128:131] offset:4032
	ds_write_b128 v175, v[140:143] offset:5040
	;; [unrolled: 1-line block ×4, first 2 shown]
	ds_write_b128 v175, v[120:123]
	ds_write_b128 v175, v[124:127] offset:1008
	ds_write_b128 v175, v[132:135] offset:2016
	;; [unrolled: 1-line block ×3, first 2 shown]
	s_waitcnt lgkmcnt(0)
	; wave barrier
	s_waitcnt lgkmcnt(0)
	global_load_dwordx4 v[120:123], v[151:152], off offset:3968
	global_load_dwordx4 v[124:127], v[112:113], off offset:1152
	;; [unrolled: 1-line block ×4, first 2 shown]
	v_add_co_u32_e64 v114, s[2:3], s5, v144
	v_addc_co_u32_e64 v115, s[2:3], 0, v167, s[2:3]
	global_load_dwordx4 v[136:139], v[114:115], off offset:384
	global_load_dwordx4 v[140:143], v[114:115], off offset:1536
	;; [unrolled: 1-line block ×3, first 2 shown]
	ds_read_b128 v[151:154], v175
	ds_read_b128 v[155:158], v175 offset:1152
	ds_read_b128 v[159:162], v175 offset:2304
	ds_read_b128 v[163:166], v175 offset:3456
	ds_read_b128 v[167:170], v175 offset:4608
	ds_read_b128 v[171:174], v175 offset:5760
	ds_read_b128 v[181:184], v175 offset:6912
	s_waitcnt vmcnt(6) lgkmcnt(6)
	v_mul_f64 v[114:115], v[153:154], v[122:123]
	v_mul_f64 v[122:123], v[151:152], v[122:123]
	s_waitcnt vmcnt(5) lgkmcnt(5)
	v_mul_f64 v[185:186], v[157:158], v[126:127]
	v_mul_f64 v[126:127], v[155:156], v[126:127]
	;; [unrolled: 3-line block ×7, first 2 shown]
	v_fma_f64 v[149:150], v[151:152], v[120:121], -v[114:115]
	v_fma_f64 v[151:152], v[153:154], v[120:121], v[122:123]
	v_fma_f64 v[120:121], v[155:156], v[124:125], -v[185:186]
	v_fma_f64 v[122:123], v[157:158], v[124:125], v[126:127]
	;; [unrolled: 2-line block ×7, first 2 shown]
	ds_write_b128 v175, v[149:152]
	ds_write_b128 v175, v[120:123] offset:1152
	ds_write_b128 v175, v[124:127] offset:2304
	ds_write_b128 v175, v[128:131] offset:3456
	ds_write_b128 v175, v[132:135] offset:4608
	ds_write_b128 v175, v[136:139] offset:5760
	ds_write_b128 v175, v[140:143] offset:6912
	s_and_saveexec_b64 s[4:5], vcc
	s_cbranch_execz .LBB0_13
; %bb.12:
	global_load_dwordx4 v[120:123], v[112:113], off offset:1008
	global_load_dwordx4 v[124:127], v[112:113], off offset:2160
	;; [unrolled: 1-line block ×3, first 2 shown]
	v_add_co_u32_e64 v140, s[2:3], s12, v112
	v_addc_co_u32_e64 v141, s[2:3], 0, v113, s[2:3]
	global_load_dwordx4 v[112:115], v[140:141], off offset:368
	global_load_dwordx4 v[132:135], v[140:141], off offset:1520
	;; [unrolled: 1-line block ×3, first 2 shown]
	s_nop 0
	global_load_dwordx4 v[140:143], v[140:141], off offset:3824
	ds_read_b128 v[147:150], v175 offset:1008
	ds_read_b128 v[151:154], v175 offset:2160
	;; [unrolled: 1-line block ×7, first 2 shown]
	s_waitcnt vmcnt(6) lgkmcnt(6)
	v_mul_f64 v[181:182], v[149:150], v[122:123]
	v_mul_f64 v[122:123], v[147:148], v[122:123]
	s_waitcnt vmcnt(5) lgkmcnt(5)
	v_mul_f64 v[183:184], v[153:154], v[126:127]
	v_mul_f64 v[126:127], v[151:152], v[126:127]
	;; [unrolled: 3-line block ×7, first 2 shown]
	v_fma_f64 v[147:148], v[147:148], v[120:121], -v[181:182]
	v_fma_f64 v[149:150], v[149:150], v[120:121], v[122:123]
	v_fma_f64 v[120:121], v[151:152], v[124:125], -v[183:184]
	v_fma_f64 v[122:123], v[153:154], v[124:125], v[126:127]
	;; [unrolled: 2-line block ×7, first 2 shown]
	ds_write_b128 v175, v[147:150] offset:1008
	ds_write_b128 v175, v[120:123] offset:2160
	;; [unrolled: 1-line block ×7, first 2 shown]
.LBB0_13:
	s_or_b64 exec, exec, s[4:5]
	s_waitcnt lgkmcnt(0)
	; wave barrier
	s_waitcnt lgkmcnt(0)
	ds_read_b128 v[112:115], v175
	ds_read_b128 v[132:135], v175 offset:1152
	ds_read_b128 v[128:131], v175 offset:2304
	;; [unrolled: 1-line block ×6, first 2 shown]
	s_and_saveexec_b64 s[2:3], vcc
	s_cbranch_execz .LBB0_15
; %bb.14:
	ds_read_b128 v[116:119], v175 offset:1008
	ds_read_b128 v[108:111], v175 offset:2160
	;; [unrolled: 1-line block ×7, first 2 shown]
.LBB0_15:
	s_or_b64 exec, exec, s[2:3]
	s_waitcnt lgkmcnt(0)
	v_add_f64 v[147:148], v[132:133], v[140:141]
	v_add_f64 v[149:150], v[134:135], v[142:143]
	v_add_f64 v[132:133], v[132:133], -v[140:141]
	v_add_f64 v[134:135], v[134:135], -v[142:143]
	v_add_f64 v[140:141], v[128:129], v[136:137]
	v_add_f64 v[142:143], v[130:131], v[138:139]
	v_add_f64 v[128:129], v[128:129], -v[136:137]
	v_add_f64 v[130:131], v[130:131], -v[138:139]
	;; [unrolled: 4-line block ×4, first 2 shown]
	v_add_f64 v[147:148], v[147:148], -v[136:137]
	v_add_f64 v[149:150], v[149:150], -v[138:139]
	;; [unrolled: 1-line block ×3, first 2 shown]
	v_add_f64 v[155:156], v[120:121], v[128:129]
	v_add_f64 v[159:160], v[120:121], -v[128:129]
	v_add_f64 v[124:125], v[136:137], v[124:125]
	v_add_f64 v[126:127], v[138:139], v[126:127]
	v_add_f64 v[128:129], v[128:129], -v[132:133]
	v_add_f64 v[142:143], v[138:139], -v[142:143]
	v_add_f64 v[157:158], v[122:123], v[130:131]
	v_add_f64 v[161:162], v[122:123], -v[130:131]
	v_add_f64 v[130:131], v[130:131], -v[134:135]
	s_mov_b32 s20, 0x37e14327
	s_mov_b32 s16, 0x36b3c0b5
	;; [unrolled: 1-line block ×8, first 2 shown]
	v_add_f64 v[120:121], v[132:133], -v[120:121]
	v_add_f64 v[132:133], v[155:156], v[132:133]
	v_add_f64 v[112:113], v[112:113], v[124:125]
	;; [unrolled: 1-line block ×3, first 2 shown]
	v_mul_f64 v[136:137], v[147:148], s[20:21]
	v_mul_f64 v[138:139], v[149:150], s[20:21]
	v_mul_f64 v[147:148], v[140:141], s[16:17]
	v_mul_f64 v[155:156], v[159:160], s[12:13]
	v_mul_f64 v[159:160], v[128:129], s[2:3]
	v_add_f64 v[122:123], v[134:135], -v[122:123]
	v_add_f64 v[134:135], v[157:158], v[134:135]
	v_mul_f64 v[149:150], v[142:143], s[16:17]
	v_mul_f64 v[157:158], v[161:162], s[12:13]
	;; [unrolled: 1-line block ×3, first 2 shown]
	s_mov_b32 s22, 0xaaaaaaaa
	s_mov_b32 s4, 0x5476071b
	s_mov_b32 s24, 0xb247c609
	s_mov_b32 s23, 0xbff2aaaa
	s_mov_b32 s5, 0x3fe77f67
	s_mov_b32 s15, 0xbfe77f67
	s_mov_b32 s14, s4
	s_mov_b32 s25, 0xbfd5d0dc
	s_mov_b32 s19, 0x3fd5d0dc
	s_mov_b32 s18, s24
	v_fma_f64 v[124:125], v[124:125], s[22:23], v[112:113]
	v_fma_f64 v[126:127], v[126:127], s[22:23], v[114:115]
	;; [unrolled: 1-line block ×4, first 2 shown]
	v_fma_f64 v[147:148], v[151:152], s[4:5], -v[147:148]
	v_fma_f64 v[136:137], v[151:152], s[14:15], -v[136:137]
	;; [unrolled: 1-line block ×3, first 2 shown]
	v_fma_f64 v[151:152], v[120:121], s[24:25], v[155:156]
	v_fma_f64 v[128:129], v[128:129], s[2:3], -v[155:156]
	v_fma_f64 v[120:121], v[120:121], s[18:19], -v[159:160]
	;; [unrolled: 1-line block ×3, first 2 shown]
	v_fma_f64 v[153:154], v[122:123], s[24:25], v[157:158]
	v_fma_f64 v[122:123], v[122:123], s[18:19], -v[161:162]
	s_mov_b32 s18, 0x37c3f68c
	s_mov_b32 s19, 0xbfdc38aa
	v_fma_f64 v[130:131], v[130:131], s[2:3], -v[157:158]
	v_add_f64 v[181:182], v[140:141], v[124:125]
	v_add_f64 v[185:186], v[147:148], v[124:125]
	v_fma_f64 v[191:192], v[132:133], s[18:19], v[151:152]
	v_add_f64 v[193:194], v[136:137], v[124:125]
	v_add_f64 v[195:196], v[138:139], v[126:127]
	v_fma_f64 v[197:198], v[132:133], s[18:19], v[128:129]
	v_fma_f64 v[201:202], v[132:133], s[18:19], v[120:121]
	v_add_f64 v[124:125], v[108:109], v[88:89]
	v_add_f64 v[132:133], v[110:111], v[90:91]
	;; [unrolled: 1-line block ×6, first 2 shown]
	v_fma_f64 v[189:190], v[134:135], s[18:19], v[153:154]
	v_fma_f64 v[199:200], v[134:135], s[18:19], v[130:131]
	;; [unrolled: 1-line block ×3, first 2 shown]
	v_add_f64 v[142:143], v[108:109], -v[88:89]
	v_add_f64 v[126:127], v[110:111], -v[90:91]
	v_add_f64 v[88:89], v[76:77], v[80:81]
	v_add_f64 v[90:91], v[78:79], v[82:83]
	v_add_f64 v[149:150], v[72:73], -v[84:85]
	v_add_f64 v[134:135], v[74:75], -v[86:87]
	v_add_f64 v[72:73], v[128:129], v[124:125]
	v_add_f64 v[74:75], v[138:139], v[132:133]
	v_add_f64 v[76:77], v[80:81], -v[76:77]
	v_add_f64 v[78:79], v[82:83], -v[78:79]
	;; [unrolled: 1-line block ×6, first 2 shown]
	v_add_f64 v[72:73], v[88:89], v[72:73]
	v_add_f64 v[74:75], v[90:91], v[74:75]
	v_add_f64 v[90:91], v[142:143], -v[76:77]
	v_add_f64 v[88:89], v[126:127], -v[78:79]
	v_add_f64 v[84:85], v[76:77], v[149:150]
	v_add_f64 v[86:87], v[78:79], v[134:135]
	v_add_f64 v[163:164], v[76:77], -v[149:150]
	v_add_f64 v[165:166], v[78:79], -v[134:135]
	v_add_f64 v[116:117], v[116:117], v[72:73]
	v_add_f64 v[118:119], v[118:119], v[74:75]
	v_mul_f64 v[151:152], v[80:81], s[20:21]
	v_mul_f64 v[159:160], v[82:83], s[20:21]
	;; [unrolled: 1-line block ×4, first 2 shown]
	v_add_f64 v[171:172], v[84:85], v[142:143]
	v_add_f64 v[173:174], v[86:87], v[126:127]
	v_fma_f64 v[140:141], v[72:73], s[22:23], v[116:117]
	v_fma_f64 v[147:148], v[74:75], s[22:23], v[118:119]
	;; [unrolled: 1-line block ×6, first 2 shown]
	v_add_f64 v[120:121], v[181:182], v[189:190]
	v_add_f64 v[122:123], v[183:184], -v[191:192]
	v_add_f64 v[76:77], v[193:194], v[203:204]
	v_add_f64 v[78:79], v[195:196], -v[201:202]
	v_add_f64 v[130:131], v[80:81], v[140:141]
	v_add_f64 v[155:156], v[82:83], v[147:148]
	v_fma_f64 v[136:137], v[173:174], s[18:19], v[84:85]
	v_fma_f64 v[157:158], v[171:172], s[18:19], v[86:87]
	v_add_f64 v[72:73], v[185:186], -v[199:200]
	v_add_f64 v[74:75], v[197:198], v[187:188]
	v_add_f64 v[84:85], v[185:186], v[199:200]
	v_add_f64 v[86:87], v[187:188], -v[197:198]
	v_add_f64 v[108:109], v[193:194], -v[203:204]
	v_add_f64 v[110:111], v[201:202], v[195:196]
	v_add_f64 v[80:81], v[181:182], -v[189:190]
	v_add_f64 v[82:83], v[191:192], v[183:184]
	v_add_f64 v[88:89], v[130:131], v[136:137]
	v_add_f64 v[90:91], v[155:156], -v[157:158]
	s_waitcnt lgkmcnt(0)
	; wave barrier
	ds_write_b128 v180, v[112:115]
	ds_write_b128 v180, v[120:123] offset:16
	ds_write_b128 v180, v[76:79] offset:32
	;; [unrolled: 1-line block ×6, first 2 shown]
	s_and_saveexec_b64 s[20:21], vcc
	s_cbranch_execz .LBB0_17
; %bb.16:
	v_add_f64 v[142:143], v[149:150], -v[142:143]
	v_add_f64 v[132:133], v[138:139], -v[132:133]
	v_mul_f64 v[138:139], v[163:164], s[12:13]
	v_add_f64 v[124:125], v[128:129], -v[124:125]
	v_add_f64 v[126:127], v[134:135], -v[126:127]
	v_mul_f64 v[167:168], v[167:168], s[16:17]
	v_mul_f64 v[169:170], v[169:170], s[16:17]
	v_mul_f64 v[149:150], v[165:166], s[12:13]
	s_mov_b32 s13, 0x3febfeb5
	s_mov_b32 s12, s2
	v_mul_f64 v[171:172], v[171:172], s[18:19]
	v_mul_f64 v[173:174], v[173:174], s[18:19]
	v_fma_f64 v[128:129], v[142:143], s[12:13], -v[161:162]
	v_fma_f64 v[134:135], v[132:133], s[14:15], -v[159:160]
	v_fma_f64 v[138:139], v[142:143], s[2:3], -v[138:139]
	v_fma_f64 v[142:143], v[124:125], s[14:15], -v[151:152]
	v_fma_f64 v[151:152], v[126:127], s[12:13], -v[153:154]
	v_fma_f64 v[132:133], v[132:133], s[4:5], -v[169:170]
	v_fma_f64 v[124:125], v[124:125], s[4:5], -v[167:168]
	v_fma_f64 v[126:127], v[126:127], s[2:3], -v[149:150]
	v_add_f64 v[128:129], v[171:172], v[128:129]
	v_add_f64 v[153:154], v[134:135], v[147:148]
	;; [unrolled: 1-line block ×10, first 2 shown]
	v_add_f64 v[153:154], v[153:154], -v[128:129]
	v_lshlrev_b32_e32 v128, 4, v179
	v_add_f64 v[151:152], v[142:143], v[159:160]
	v_add_f64 v[149:150], v[138:139], v[132:133]
	v_add_f64 v[140:141], v[132:133], -v[138:139]
	v_add_f64 v[147:148], v[124:125], -v[161:162]
	v_add_f64 v[138:139], v[124:125], v[161:162]
	v_add_f64 v[132:133], v[142:143], -v[159:160]
	v_add_f64 v[124:125], v[130:131], -v[136:137]
	ds_write_b128 v128, v[116:119]
	ds_write_b128 v128, v[88:91] offset:16
	ds_write_b128 v128, v[151:154] offset:32
	;; [unrolled: 1-line block ×6, first 2 shown]
.LBB0_17:
	s_or_b64 exec, exec, s[20:21]
	s_waitcnt lgkmcnt(0)
	; wave barrier
	s_waitcnt lgkmcnt(0)
	s_and_saveexec_b64 s[2:3], s[0:1]
	s_cbranch_execz .LBB0_19
; %bb.18:
	ds_read_b128 v[112:115], v175
	ds_read_b128 v[120:123], v175 offset:896
	ds_read_b128 v[76:79], v175 offset:1792
	;; [unrolled: 1-line block ×8, first 2 shown]
.LBB0_19:
	s_or_b64 exec, exec, s[2:3]
	s_waitcnt lgkmcnt(0)
	; wave barrier
	s_waitcnt lgkmcnt(0)
	s_and_saveexec_b64 s[2:3], s[0:1]
	s_cbranch_execz .LBB0_21
; %bb.20:
	v_mul_f64 v[124:125], v[38:39], v[86:87]
	v_mul_f64 v[126:127], v[54:55], v[110:111]
	;; [unrolled: 1-line block ×9, first 2 shown]
	v_fma_f64 v[124:125], v[36:37], v[84:85], v[124:125]
	v_fma_f64 v[126:127], v[52:53], v[108:109], v[126:127]
	;; [unrolled: 1-line block ×4, first 2 shown]
	v_fma_f64 v[56:57], v[56:57], v[118:119], -v[58:59]
	v_fma_f64 v[40:41], v[40:41], v[78:79], -v[42:43]
	;; [unrolled: 1-line block ×4, first 2 shown]
	v_mul_f64 v[128:129], v[30:31], v[122:123]
	v_mul_f64 v[132:133], v[34:35], v[74:75]
	;; [unrolled: 1-line block ×3, first 2 shown]
	v_fma_f64 v[58:59], v[44:45], v[88:89], v[130:131]
	v_mul_f64 v[50:51], v[50:51], v[80:81]
	v_add_f64 v[38:39], v[56:57], v[40:41]
	v_mul_f64 v[34:35], v[34:35], v[72:73]
	v_mul_f64 v[46:47], v[46:47], v[88:89]
	v_add_f64 v[86:87], v[36:37], -v[52:53]
	v_add_f64 v[88:89], v[136:137], v[134:135]
	v_mul_f64 v[30:31], v[30:31], v[120:121]
	v_add_f64 v[140:141], v[124:125], -v[126:127]
	s_mov_b32 s0, 0x8c811c17
	s_mov_b32 s14, 0xa2cf5039
	;; [unrolled: 1-line block ×4, first 2 shown]
	v_fma_f64 v[76:77], v[32:33], v[72:73], v[132:133]
	v_fma_f64 v[84:85], v[48:49], v[80:81], v[138:139]
	;; [unrolled: 1-line block ×4, first 2 shown]
	v_add_f64 v[110:111], v[36:37], v[52:53]
	v_fma_f64 v[48:49], v[48:49], v[82:83], -v[50:51]
	v_fma_f64 v[32:33], v[32:33], v[74:75], -v[34:35]
	;; [unrolled: 1-line block ×3, first 2 shown]
	v_add_f64 v[40:41], v[40:41], -v[56:57]
	v_mul_f64 v[44:45], v[86:87], s[0:1]
	v_fma_f64 v[46:47], v[88:89], s[14:15], v[112:113]
	v_add_f64 v[50:51], v[124:125], v[126:127]
	v_fma_f64 v[28:29], v[28:29], v[122:123], -v[30:31]
	v_add_f64 v[108:109], v[134:135], -v[136:137]
	v_mul_f64 v[116:117], v[140:141], s[0:1]
	s_mov_b32 s18, 0x7e0b738b
	s_mov_b32 s5, 0xbfe491b7
	;; [unrolled: 1-line block ×4, first 2 shown]
	v_fma_f64 v[30:31], v[110:111], s[18:19], v[72:73]
	v_add_f64 v[56:57], v[32:33], v[48:49]
	v_add_f64 v[48:49], v[32:33], -v[48:49]
	v_fma_f64 v[32:33], v[40:41], s[4:5], -v[44:45]
	v_fma_f64 v[44:45], v[50:51], s[18:19], v[46:47]
	v_add_f64 v[46:47], v[76:77], v[84:85]
	v_add_f64 v[72:73], v[34:35], v[28:29]
	v_add_f64 v[78:79], v[76:77], -v[84:85]
	v_fma_f64 v[116:117], v[108:109], s[4:5], -v[116:117]
	v_add_f64 v[54:55], v[42:43], -v[58:59]
	v_add_f64 v[42:43], v[58:59], v[42:43]
	s_mov_b32 s12, 0xe8584cab
	s_mov_b32 s13, 0x3febb67a
	v_add_f64 v[58:59], v[28:29], -v[34:35]
	v_fma_f64 v[28:29], v[48:49], s[12:13], v[32:33]
	v_fma_f64 v[32:33], v[46:47], -0.5, v[44:45]
	v_add_f64 v[34:35], v[38:39], v[72:73]
	v_fma_f64 v[80:81], v[78:79], s[12:13], v[116:117]
	v_fma_f64 v[30:31], v[56:57], -0.5, v[30:31]
	v_add_f64 v[44:45], v[88:89], v[42:43]
	s_mov_b32 s16, 0x748a0bf8
	s_mov_b32 s20, 0x42522d1b
	;; [unrolled: 1-line block ×4, first 2 shown]
	v_fma_f64 v[76:77], v[58:59], s[16:17], v[28:29]
	v_fma_f64 v[28:29], v[42:43], s[20:21], v[32:33]
	v_add_f64 v[32:33], v[56:57], v[34:35]
	v_fma_f64 v[74:75], v[54:55], s[16:17], v[80:81]
	v_fma_f64 v[30:31], v[72:73], s[20:21], v[30:31]
	v_add_f64 v[80:81], v[46:47], v[44:45]
	v_add_f64 v[82:83], v[140:141], v[54:55]
	;; [unrolled: 1-line block ×4, first 2 shown]
	v_add_f64 v[28:29], v[28:29], -v[76:77]
	v_add_f64 v[36:37], v[36:37], v[32:33]
	v_add_f64 v[116:117], v[112:113], v[46:47]
	;; [unrolled: 1-line block ×6, first 2 shown]
	v_fma_f64 v[120:121], v[72:73], s[14:15], v[114:115]
	v_fma_f64 v[32:33], v[76:77], 2.0, v[28:29]
	v_add_f64 v[52:53], v[52:53], v[36:37]
	v_add_f64 v[36:37], v[82:83], -v[108:109]
	v_fma_f64 v[76:77], v[90:91], -0.5, v[84:85]
	v_fma_f64 v[44:45], v[44:45], -0.5, v[116:117]
	v_mul_f64 v[82:83], v[140:141], s[4:5]
	v_fma_f64 v[84:85], v[110:111], s[14:15], v[114:115]
	v_fma_f64 v[90:91], v[50:51], s[14:15], v[112:113]
	v_mul_f64 v[116:117], v[86:87], s[4:5]
	s_mov_b32 s5, 0x3fe491b7
	v_fma_f64 v[34:35], v[74:75], -2.0, v[30:31]
	v_add_f64 v[74:75], v[126:127], v[80:81]
	v_add_f64 v[80:81], v[118:119], -v[40:41]
	v_mul_f64 v[118:119], v[54:55], s[4:5]
	v_fma_f64 v[122:123], v[42:43], s[14:15], v[112:113]
	v_mul_f64 v[124:125], v[58:59], s[4:5]
	v_fma_f64 v[54:55], v[54:55], s[0:1], v[82:83]
	v_fma_f64 v[72:73], v[72:73], s[18:19], v[84:85]
	;; [unrolled: 1-line block ×8, first 2 shown]
	s_mov_b32 s23, 0xbfebb67a
	s_mov_b32 s22, s12
	v_fma_f64 v[54:55], v[78:79], s[22:23], v[54:55]
	v_fma_f64 v[72:73], v[56:57], -0.5, v[72:73]
	v_fma_f64 v[42:43], v[46:47], -0.5, v[42:43]
	v_fma_f64 v[58:59], v[48:49], s[22:23], v[58:59]
	v_fma_f64 v[78:79], v[78:79], s[12:13], v[82:83]
	v_fma_f64 v[56:57], v[56:57], -0.5, v[84:85]
	v_fma_f64 v[46:47], v[46:47], -0.5, v[90:91]
	v_fma_f64 v[48:49], v[48:49], s[12:13], v[116:117]
	v_fma_f64 v[82:83], v[108:109], s[16:17], v[54:55]
	;; [unrolled: 1-line block ×9, first 2 shown]
	v_mul_f64 v[58:59], v[36:37], s[12:13]
	v_fma_f64 v[38:39], v[36:37], s[12:13], v[76:77]
	v_mul_f64 v[76:77], v[80:81], s[12:13]
	v_fma_f64 v[36:37], v[80:81], s[22:23], v[44:45]
	v_add_f64 v[42:43], v[82:83], v[54:55]
	v_add_f64 v[40:41], v[72:73], -v[84:85]
	v_add_f64 v[46:47], v[78:79], v[56:57]
	v_add_f64 v[44:45], v[50:51], -v[86:87]
	v_add_f64 v[50:51], v[114:115], v[52:53]
	v_add_f64 v[48:49], v[112:113], v[74:75]
	v_fma_f64 v[54:55], v[58:59], -2.0, v[38:39]
	v_fma_f64 v[52:53], v[76:77], 2.0, v[36:37]
	v_fma_f64 v[58:59], v[82:83], -2.0, v[42:43]
	v_fma_f64 v[56:57], v[84:85], 2.0, v[40:41]
	v_add_lshl_u32 v76, v178, v177, 4
	v_fma_f64 v[74:75], v[78:79], -2.0, v[46:47]
	v_fma_f64 v[72:73], v[86:87], 2.0, v[44:45]
	ds_write_b128 v76, v[48:51]
	ds_write_b128 v76, v[44:47] offset:112
	ds_write_b128 v76, v[40:43] offset:224
	;; [unrolled: 1-line block ×8, first 2 shown]
.LBB0_21:
	s_or_b64 exec, exec, s[2:3]
	s_waitcnt lgkmcnt(0)
	; wave barrier
	s_waitcnt lgkmcnt(0)
	ds_read_b128 v[28:31], v175 offset:2016
	ds_read_b128 v[32:35], v175 offset:4032
	;; [unrolled: 1-line block ×4, first 2 shown]
	ds_read_b128 v[44:47], v175
	ds_read_b128 v[48:51], v175 offset:1008
	ds_read_b128 v[52:55], v175 offset:6048
	;; [unrolled: 1-line block ×3, first 2 shown]
	s_waitcnt lgkmcnt(7)
	v_mul_f64 v[72:73], v[70:71], v[30:31]
	v_mul_f64 v[74:75], v[70:71], v[28:29]
	s_waitcnt lgkmcnt(6)
	v_mul_f64 v[76:77], v[66:67], v[34:35]
	v_mul_f64 v[78:79], v[66:67], v[32:33]
	s_waitcnt lgkmcnt(0)
	v_mul_f64 v[80:81], v[62:63], v[58:59]
	s_waitcnt lgkmcnt(0)
	; wave barrier
	s_mov_b32 s2, 0x10410410
	v_fma_f64 v[28:29], v[68:69], v[28:29], v[72:73]
	v_fma_f64 v[30:31], v[68:69], v[30:31], -v[74:75]
	v_mul_f64 v[72:73], v[62:63], v[54:55]
	v_mul_f64 v[74:75], v[62:63], v[52:53]
	v_fma_f64 v[32:33], v[64:65], v[32:33], v[76:77]
	v_fma_f64 v[34:35], v[64:65], v[34:35], -v[78:79]
	v_mul_f64 v[76:77], v[70:71], v[38:39]
	v_mul_f64 v[70:71], v[70:71], v[36:37]
	;; [unrolled: 1-line block ×5, first 2 shown]
	v_fma_f64 v[52:53], v[60:61], v[52:53], v[72:73]
	v_fma_f64 v[54:55], v[60:61], v[54:55], -v[74:75]
	v_fma_f64 v[56:57], v[60:61], v[56:57], v[80:81]
	v_fma_f64 v[36:37], v[68:69], v[36:37], v[76:77]
	v_fma_f64 v[38:39], v[68:69], v[38:39], -v[70:71]
	v_fma_f64 v[40:41], v[64:65], v[40:41], v[78:79]
	v_fma_f64 v[42:43], v[64:65], v[42:43], -v[66:67]
	v_fma_f64 v[58:59], v[60:61], v[58:59], -v[62:63]
	v_add_f64 v[60:61], v[44:45], -v[32:33]
	v_add_f64 v[62:63], v[46:47], -v[34:35]
	;; [unrolled: 1-line block ×4, first 2 shown]
	s_mov_b32 s3, 0x3f604104
	v_add_f64 v[64:65], v[48:49], -v[40:41]
	v_add_f64 v[66:67], v[50:51], -v[42:43]
	;; [unrolled: 1-line block ×4, first 2 shown]
	v_fma_f64 v[44:45], v[44:45], 2.0, -v[60:61]
	v_fma_f64 v[46:47], v[46:47], 2.0, -v[62:63]
	;; [unrolled: 1-line block ×8, first 2 shown]
	v_add_f64 v[32:33], v[60:61], v[32:33]
	v_add_f64 v[34:35], v[62:63], -v[34:35]
	v_add_f64 v[28:29], v[44:45], -v[28:29]
	;; [unrolled: 1-line block ×3, first 2 shown]
	v_add_f64 v[40:41], v[64:65], v[40:41]
	v_add_f64 v[42:43], v[66:67], -v[42:43]
	v_add_f64 v[36:37], v[52:53], -v[36:37]
	;; [unrolled: 1-line block ×3, first 2 shown]
	v_fma_f64 v[48:49], v[60:61], 2.0, -v[32:33]
	v_fma_f64 v[50:51], v[62:63], 2.0, -v[34:35]
	;; [unrolled: 1-line block ×8, first 2 shown]
	ds_write_b128 v175, v[44:47]
	ds_write_b128 v175, v[48:51] offset:1008
	ds_write_b128 v175, v[28:31] offset:2016
	;; [unrolled: 1-line block ×7, first 2 shown]
	s_waitcnt lgkmcnt(0)
	; wave barrier
	s_waitcnt lgkmcnt(0)
	ds_read_b128 v[28:31], v175
	ds_read_b128 v[32:35], v175 offset:1008
	ds_read_b128 v[36:39], v175 offset:4032
	;; [unrolled: 1-line block ×7, first 2 shown]
	s_waitcnt lgkmcnt(5)
	v_mul_f64 v[60:61], v[94:95], v[38:39]
	v_mul_f64 v[62:63], v[94:95], v[36:37]
	s_waitcnt lgkmcnt(4)
	v_mul_f64 v[64:65], v[98:99], v[42:43]
	v_mul_f64 v[66:67], v[98:99], v[40:41]
	;; [unrolled: 3-line block ×4, first 2 shown]
	v_fma_f64 v[36:37], v[92:93], v[36:37], v[60:61]
	v_fma_f64 v[38:39], v[92:93], v[38:39], -v[62:63]
	v_fma_f64 v[40:41], v[96:97], v[40:41], v[64:65]
	v_fma_f64 v[42:43], v[96:97], v[42:43], -v[66:67]
	;; [unrolled: 2-line block ×4, first 2 shown]
	v_add_f64 v[36:37], v[28:29], -v[36:37]
	v_add_f64 v[38:39], v[30:31], -v[38:39]
	;; [unrolled: 1-line block ×8, first 2 shown]
	v_fma_f64 v[28:29], v[28:29], 2.0, -v[36:37]
	v_fma_f64 v[30:31], v[30:31], 2.0, -v[38:39]
	;; [unrolled: 1-line block ×8, first 2 shown]
	ds_write_b128 v175, v[28:31]
	ds_write_b128 v175, v[36:39] offset:4032
	ds_write_b128 v175, v[32:35] offset:1008
	ds_write_b128 v175, v[40:43] offset:5040
	ds_write_b128 v175, v[44:47] offset:2016
	ds_write_b128 v175, v[52:55] offset:6048
	ds_write_b128 v175, v[48:51] offset:3024
	ds_write_b128 v175, v[56:59] offset:7056
	s_waitcnt lgkmcnt(0)
	; wave barrier
	s_waitcnt lgkmcnt(0)
	ds_read_b128 v[28:31], v175
	ds_read_b128 v[32:35], v175 offset:1152
	v_mad_u64_u32 v[36:37], s[0:1], s10, v146, 0
	s_waitcnt lgkmcnt(1)
	v_mul_f64 v[38:39], v[26:27], v[30:31]
	v_mul_f64 v[26:27], v[26:27], v[28:29]
	v_mad_u64_u32 v[40:41], s[0:1], s11, v146, v[37:38]
	v_mad_u64_u32 v[41:42], s[0:1], s8, v176, 0
	v_fma_f64 v[28:29], v[24:25], v[28:29], v[38:39]
	v_fma_f64 v[26:27], v[24:25], v[30:31], -v[26:27]
	v_mov_b32_e32 v24, v42
	v_mad_u64_u32 v[30:31], s[0:1], s9, v176, v[24:25]
	v_mov_b32_e32 v37, v40
	v_mov_b32_e32 v42, v30
	s_waitcnt lgkmcnt(0)
	v_mul_f64 v[30:31], v[18:19], v[34:35]
	v_mul_f64 v[18:19], v[18:19], v[32:33]
	;; [unrolled: 1-line block ×4, first 2 shown]
	v_lshlrev_b64 v[28:29], 4, v[36:37]
	v_mov_b32_e32 v36, s7
	v_add_co_u32_e64 v37, s[0:1], s6, v28
	v_fma_f64 v[30:31], v[16:17], v[32:33], v[30:31]
	v_fma_f64 v[32:33], v[16:17], v[34:35], -v[18:19]
	ds_read_b128 v[16:19], v175 offset:2304
	v_addc_co_u32_e64 v36, s[0:1], v36, v29, s[0:1]
	v_lshlrev_b64 v[28:29], 4, v[41:42]
	v_add_co_u32_e64 v34, s[0:1], v37, v28
	v_addc_co_u32_e64 v35, s[0:1], v36, v29, s[0:1]
	global_store_dwordx4 v[34:35], v[24:27], off
	s_mul_i32 s0, s9, 0x48
	v_mul_f64 v[24:25], v[30:31], s[2:3]
	ds_read_b128 v[28:31], v175 offset:3456
	v_mul_f64 v[26:27], v[32:33], s[2:3]
	s_waitcnt lgkmcnt(1)
	v_mul_f64 v[32:33], v[22:23], v[18:19]
	v_mul_f64 v[22:23], v[22:23], v[16:17]
	s_mul_hi_u32 s1, s8, 0x48
	s_add_i32 s1, s1, s0
	s_mul_i32 s0, s8, 0x48
	s_lshl_b64 s[4:5], s[0:1], 4
	v_mov_b32_e32 v36, s5
	v_add_co_u32_e64 v34, s[0:1], s4, v34
	v_fma_f64 v[16:17], v[20:21], v[16:17], v[32:33]
	v_fma_f64 v[18:19], v[20:21], v[18:19], -v[22:23]
	s_waitcnt lgkmcnt(0)
	v_mul_f64 v[32:33], v[6:7], v[30:31]
	v_mul_f64 v[6:7], v[6:7], v[28:29]
	ds_read_b128 v[20:23], v175 offset:4608
	v_addc_co_u32_e64 v35, s[0:1], v35, v36, s[0:1]
	global_store_dwordx4 v[34:35], v[24:27], off
	v_mul_f64 v[16:17], v[16:17], s[2:3]
	v_mul_f64 v[18:19], v[18:19], s[2:3]
	v_fma_f64 v[24:25], v[4:5], v[28:29], v[32:33]
	v_fma_f64 v[26:27], v[4:5], v[30:31], -v[6:7]
	ds_read_b128 v[4:7], v175 offset:5760
	s_waitcnt lgkmcnt(1)
	v_mul_f64 v[28:29], v[10:11], v[22:23]
	v_mul_f64 v[10:11], v[10:11], v[20:21]
	v_add_co_u32_e64 v30, s[0:1], s4, v34
	v_addc_co_u32_e64 v31, s[0:1], v35, v36, s[0:1]
	global_store_dwordx4 v[30:31], v[16:19], off
	v_add_co_u32_e64 v30, s[0:1], s4, v30
	v_mul_f64 v[16:17], v[24:25], s[2:3]
	v_mul_f64 v[18:19], v[26:27], s[2:3]
	ds_read_b128 v[24:27], v175 offset:6912
	v_fma_f64 v[10:11], v[8:9], v[22:23], -v[10:11]
	s_waitcnt lgkmcnt(1)
	v_mul_f64 v[22:23], v[2:3], v[6:7]
	v_mul_f64 v[2:3], v[2:3], v[4:5]
	v_fma_f64 v[20:21], v[8:9], v[20:21], v[28:29]
	s_waitcnt lgkmcnt(0)
	v_mul_f64 v[28:29], v[14:15], v[26:27]
	v_mul_f64 v[14:15], v[14:15], v[24:25]
	v_addc_co_u32_e64 v31, s[0:1], v31, v36, s[0:1]
	v_mul_f64 v[10:11], v[10:11], s[2:3]
	v_fma_f64 v[4:5], v[0:1], v[4:5], v[22:23]
	v_fma_f64 v[2:3], v[0:1], v[6:7], -v[2:3]
	v_mul_f64 v[8:9], v[20:21], s[2:3]
	v_fma_f64 v[6:7], v[12:13], v[24:25], v[28:29]
	v_fma_f64 v[12:13], v[12:13], v[26:27], -v[14:15]
	v_add_co_u32_e64 v14, s[0:1], s4, v30
	v_addc_co_u32_e64 v15, s[0:1], v31, v36, s[0:1]
	v_mul_f64 v[0:1], v[4:5], s[2:3]
	v_mul_f64 v[2:3], v[2:3], s[2:3]
	;; [unrolled: 1-line block ×4, first 2 shown]
	global_store_dwordx4 v[30:31], v[16:19], off
	global_store_dwordx4 v[14:15], v[8:11], off
	s_nop 0
	v_add_co_u32_e64 v8, s[0:1], s4, v14
	v_addc_co_u32_e64 v9, s[0:1], v15, v36, s[0:1]
	global_store_dwordx4 v[8:9], v[0:3], off
	s_nop 0
	v_add_co_u32_e64 v0, s[0:1], s4, v8
	v_addc_co_u32_e64 v1, s[0:1], v9, v36, s[0:1]
	global_store_dwordx4 v[0:1], v[4:7], off
	s_and_b64 exec, exec, vcc
	s_cbranch_execz .LBB0_23
; %bb.22:
	s_movk_i32 s0, 0x1000
	global_load_dwordx4 v[2:5], v[144:145], off offset:1008
	global_load_dwordx4 v[6:9], v[144:145], off offset:2160
	;; [unrolled: 1-line block ×3, first 2 shown]
	v_add_co_u32_e32 v46, vcc, s0, v144
	v_addc_co_u32_e32 v47, vcc, 0, v145, vcc
	global_load_dwordx4 v[14:17], v[46:47], off offset:368
	global_load_dwordx4 v[18:21], v[46:47], off offset:1520
	ds_read_b128 v[22:25], v175 offset:1008
	ds_read_b128 v[26:29], v175 offset:2160
	;; [unrolled: 1-line block ×4, first 2 shown]
	v_mov_b32_e32 v38, 0xffffe8f0
	v_mad_u64_u32 v[48:49], s[0:1], s8, v38, v[0:1]
	ds_read_b128 v[38:41], v175 offset:5616
	ds_read_b128 v[42:45], v175 offset:6768
	s_mul_i32 s6, s9, 0xffffe8f0
	s_sub_i32 s0, s6, s8
	v_mov_b32_e32 v64, s5
	v_add_u32_e32 v49, s0, v49
	v_add_co_u32_e32 v50, vcc, s4, v48
	v_addc_co_u32_e32 v51, vcc, v49, v64, vcc
	v_add_co_u32_e32 v52, vcc, s4, v50
	v_addc_co_u32_e32 v53, vcc, v51, v64, vcc
	;; [unrolled: 2-line block ×3, first 2 shown]
	s_waitcnt vmcnt(4) lgkmcnt(5)
	v_mul_f64 v[0:1], v[24:25], v[4:5]
	v_mul_f64 v[4:5], v[22:23], v[4:5]
	s_waitcnt vmcnt(3) lgkmcnt(4)
	v_mul_f64 v[56:57], v[28:29], v[8:9]
	v_mul_f64 v[8:9], v[26:27], v[8:9]
	;; [unrolled: 3-line block ×5, first 2 shown]
	v_fma_f64 v[0:1], v[22:23], v[2:3], v[0:1]
	v_fma_f64 v[2:3], v[2:3], v[24:25], -v[4:5]
	v_fma_f64 v[4:5], v[26:27], v[6:7], v[56:57]
	v_fma_f64 v[6:7], v[6:7], v[28:29], -v[8:9]
	;; [unrolled: 2-line block ×5, first 2 shown]
	v_mul_f64 v[0:1], v[0:1], s[2:3]
	v_mul_f64 v[2:3], v[2:3], s[2:3]
	;; [unrolled: 1-line block ×10, first 2 shown]
	v_add_co_u32_e32 v20, vcc, s4, v54
	v_addc_co_u32_e32 v21, vcc, v55, v64, vcc
	global_store_dwordx4 v[48:49], v[0:3], off
	global_store_dwordx4 v[50:51], v[4:7], off
	;; [unrolled: 1-line block ×5, first 2 shown]
	global_load_dwordx4 v[0:3], v[46:47], off offset:2672
	v_add_co_u32_e32 v8, vcc, s4, v20
	v_addc_co_u32_e32 v9, vcc, v21, v64, vcc
	s_waitcnt vmcnt(0) lgkmcnt(0)
	v_mul_f64 v[4:5], v[44:45], v[2:3]
	v_mul_f64 v[2:3], v[42:43], v[2:3]
	v_fma_f64 v[4:5], v[42:43], v[0:1], v[4:5]
	v_fma_f64 v[2:3], v[0:1], v[44:45], -v[2:3]
	v_mul_f64 v[0:1], v[4:5], s[2:3]
	v_mul_f64 v[2:3], v[2:3], s[2:3]
	ds_read_b128 v[4:7], v175 offset:7920
	global_store_dwordx4 v[8:9], v[0:3], off
	global_load_dwordx4 v[0:3], v[46:47], off offset:3824
	s_waitcnt vmcnt(0) lgkmcnt(0)
	v_mul_f64 v[10:11], v[6:7], v[2:3]
	v_mul_f64 v[2:3], v[4:5], v[2:3]
	v_fma_f64 v[4:5], v[4:5], v[0:1], v[10:11]
	v_fma_f64 v[2:3], v[0:1], v[6:7], -v[2:3]
	v_mul_f64 v[0:1], v[4:5], s[2:3]
	v_mul_f64 v[2:3], v[2:3], s[2:3]
	v_add_co_u32_e32 v4, vcc, s4, v8
	v_addc_co_u32_e32 v5, vcc, v9, v64, vcc
	global_store_dwordx4 v[4:5], v[0:3], off
.LBB0_23:
	s_endpgm
	.section	.rodata,"a",@progbits
	.p2align	6, 0x0
	.amdhsa_kernel bluestein_single_back_len504_dim1_dp_op_CI_CI
		.amdhsa_group_segment_fixed_size 8064
		.amdhsa_private_segment_fixed_size 0
		.amdhsa_kernarg_size 104
		.amdhsa_user_sgpr_count 6
		.amdhsa_user_sgpr_private_segment_buffer 1
		.amdhsa_user_sgpr_dispatch_ptr 0
		.amdhsa_user_sgpr_queue_ptr 0
		.amdhsa_user_sgpr_kernarg_segment_ptr 1
		.amdhsa_user_sgpr_dispatch_id 0
		.amdhsa_user_sgpr_flat_scratch_init 0
		.amdhsa_user_sgpr_private_segment_size 0
		.amdhsa_uses_dynamic_stack 0
		.amdhsa_system_sgpr_private_segment_wavefront_offset 0
		.amdhsa_system_sgpr_workgroup_id_x 1
		.amdhsa_system_sgpr_workgroup_id_y 0
		.amdhsa_system_sgpr_workgroup_id_z 0
		.amdhsa_system_sgpr_workgroup_info 0
		.amdhsa_system_vgpr_workitem_id 0
		.amdhsa_next_free_vgpr 205
		.amdhsa_next_free_sgpr 36
		.amdhsa_reserve_vcc 1
		.amdhsa_reserve_flat_scratch 0
		.amdhsa_float_round_mode_32 0
		.amdhsa_float_round_mode_16_64 0
		.amdhsa_float_denorm_mode_32 3
		.amdhsa_float_denorm_mode_16_64 3
		.amdhsa_dx10_clamp 1
		.amdhsa_ieee_mode 1
		.amdhsa_fp16_overflow 0
		.amdhsa_exception_fp_ieee_invalid_op 0
		.amdhsa_exception_fp_denorm_src 0
		.amdhsa_exception_fp_ieee_div_zero 0
		.amdhsa_exception_fp_ieee_overflow 0
		.amdhsa_exception_fp_ieee_underflow 0
		.amdhsa_exception_fp_ieee_inexact 0
		.amdhsa_exception_int_div_zero 0
	.end_amdhsa_kernel
	.text
.Lfunc_end0:
	.size	bluestein_single_back_len504_dim1_dp_op_CI_CI, .Lfunc_end0-bluestein_single_back_len504_dim1_dp_op_CI_CI
                                        ; -- End function
	.section	.AMDGPU.csdata,"",@progbits
; Kernel info:
; codeLenInByte = 12172
; NumSgprs: 40
; NumVgprs: 205
; ScratchSize: 0
; MemoryBound: 0
; FloatMode: 240
; IeeeMode: 1
; LDSByteSize: 8064 bytes/workgroup (compile time only)
; SGPRBlocks: 4
; VGPRBlocks: 51
; NumSGPRsForWavesPerEU: 40
; NumVGPRsForWavesPerEU: 205
; Occupancy: 1
; WaveLimiterHint : 1
; COMPUTE_PGM_RSRC2:SCRATCH_EN: 0
; COMPUTE_PGM_RSRC2:USER_SGPR: 6
; COMPUTE_PGM_RSRC2:TRAP_HANDLER: 0
; COMPUTE_PGM_RSRC2:TGID_X_EN: 1
; COMPUTE_PGM_RSRC2:TGID_Y_EN: 0
; COMPUTE_PGM_RSRC2:TGID_Z_EN: 0
; COMPUTE_PGM_RSRC2:TIDIG_COMP_CNT: 0
	.type	__hip_cuid_bef4c846a1286749,@object ; @__hip_cuid_bef4c846a1286749
	.section	.bss,"aw",@nobits
	.globl	__hip_cuid_bef4c846a1286749
__hip_cuid_bef4c846a1286749:
	.byte	0                               ; 0x0
	.size	__hip_cuid_bef4c846a1286749, 1

	.ident	"AMD clang version 19.0.0git (https://github.com/RadeonOpenCompute/llvm-project roc-6.4.0 25133 c7fe45cf4b819c5991fe208aaa96edf142730f1d)"
	.section	".note.GNU-stack","",@progbits
	.addrsig
	.addrsig_sym __hip_cuid_bef4c846a1286749
	.amdgpu_metadata
---
amdhsa.kernels:
  - .args:
      - .actual_access:  read_only
        .address_space:  global
        .offset:         0
        .size:           8
        .value_kind:     global_buffer
      - .actual_access:  read_only
        .address_space:  global
        .offset:         8
        .size:           8
        .value_kind:     global_buffer
      - .actual_access:  read_only
        .address_space:  global
        .offset:         16
        .size:           8
        .value_kind:     global_buffer
      - .actual_access:  read_only
        .address_space:  global
        .offset:         24
        .size:           8
        .value_kind:     global_buffer
      - .actual_access:  read_only
        .address_space:  global
        .offset:         32
        .size:           8
        .value_kind:     global_buffer
      - .offset:         40
        .size:           8
        .value_kind:     by_value
      - .address_space:  global
        .offset:         48
        .size:           8
        .value_kind:     global_buffer
      - .address_space:  global
        .offset:         56
        .size:           8
        .value_kind:     global_buffer
      - .address_space:  global
        .offset:         64
        .size:           8
        .value_kind:     global_buffer
      - .address_space:  global
        .offset:         72
        .size:           8
        .value_kind:     global_buffer
      - .offset:         80
        .size:           4
        .value_kind:     by_value
      - .address_space:  global
        .offset:         88
        .size:           8
        .value_kind:     global_buffer
      - .address_space:  global
        .offset:         96
        .size:           8
        .value_kind:     global_buffer
    .group_segment_fixed_size: 8064
    .kernarg_segment_align: 8
    .kernarg_segment_size: 104
    .language:       OpenCL C
    .language_version:
      - 2
      - 0
    .max_flat_workgroup_size: 63
    .name:           bluestein_single_back_len504_dim1_dp_op_CI_CI
    .private_segment_fixed_size: 0
    .sgpr_count:     40
    .sgpr_spill_count: 0
    .symbol:         bluestein_single_back_len504_dim1_dp_op_CI_CI.kd
    .uniform_work_group_size: 1
    .uses_dynamic_stack: false
    .vgpr_count:     205
    .vgpr_spill_count: 0
    .wavefront_size: 64
amdhsa.target:   amdgcn-amd-amdhsa--gfx906
amdhsa.version:
  - 1
  - 2
...

	.end_amdgpu_metadata
